;; amdgpu-corpus repo=ROCm/rocFFT kind=compiled arch=gfx1030 opt=O3
	.text
	.amdgcn_target "amdgcn-amd-amdhsa--gfx1030"
	.amdhsa_code_object_version 6
	.protected	fft_rtc_fwd_len272_factors_16_17_wgs_119_tpt_17_halfLds_sp_ip_CI_unitstride_sbrr_dirReg ; -- Begin function fft_rtc_fwd_len272_factors_16_17_wgs_119_tpt_17_halfLds_sp_ip_CI_unitstride_sbrr_dirReg
	.globl	fft_rtc_fwd_len272_factors_16_17_wgs_119_tpt_17_halfLds_sp_ip_CI_unitstride_sbrr_dirReg
	.p2align	8
	.type	fft_rtc_fwd_len272_factors_16_17_wgs_119_tpt_17_halfLds_sp_ip_CI_unitstride_sbrr_dirReg,@function
fft_rtc_fwd_len272_factors_16_17_wgs_119_tpt_17_halfLds_sp_ip_CI_unitstride_sbrr_dirReg: ; @fft_rtc_fwd_len272_factors_16_17_wgs_119_tpt_17_halfLds_sp_ip_CI_unitstride_sbrr_dirReg
; %bb.0:
	s_load_dwordx4 s[8:11], s[4:5], 0x0
	v_mul_u32_u24_e32 v1, 0xf10, v0
	s_clause 0x1
	s_load_dwordx2 s[2:3], s[4:5], 0x50
	s_load_dwordx2 s[12:13], s[4:5], 0x18
	v_mov_b32_e32 v3, 0
	v_mov_b32_e32 v5, 0
	;; [unrolled: 1-line block ×3, first 2 shown]
	v_lshrrev_b32_e32 v1, 16, v1
	v_mad_u64_u32 v[1:2], null, s6, 7, v[1:2]
	v_mov_b32_e32 v2, v3
	v_mov_b32_e32 v14, v2
	;; [unrolled: 1-line block ×3, first 2 shown]
	s_waitcnt lgkmcnt(0)
	v_cmp_lt_u64_e64 s0, s[10:11], 2
	s_and_b32 vcc_lo, exec_lo, s0
	s_cbranch_vccnz .LBB0_8
; %bb.1:
	s_load_dwordx2 s[0:1], s[4:5], 0x10
	v_mov_b32_e32 v5, 0
	v_mov_b32_e32 v8, v2
	s_add_u32 s6, s12, 8
	v_mov_b32_e32 v6, 0
	v_mov_b32_e32 v7, v1
	s_addc_u32 s7, s13, 0
	s_mov_b64 s[16:17], 1
	s_waitcnt lgkmcnt(0)
	s_add_u32 s14, s0, 8
	s_addc_u32 s15, s1, 0
.LBB0_2:                                ; =>This Inner Loop Header: Depth=1
	s_load_dwordx2 s[18:19], s[14:15], 0x0
                                        ; implicit-def: $vgpr13_vgpr14
	s_mov_b32 s0, exec_lo
	s_waitcnt lgkmcnt(0)
	v_or_b32_e32 v4, s19, v8
	v_cmpx_ne_u64_e32 0, v[3:4]
	s_xor_b32 s1, exec_lo, s0
	s_cbranch_execz .LBB0_4
; %bb.3:                                ;   in Loop: Header=BB0_2 Depth=1
	v_cvt_f32_u32_e32 v2, s18
	v_cvt_f32_u32_e32 v4, s19
	s_sub_u32 s0, 0, s18
	s_subb_u32 s20, 0, s19
	v_fmac_f32_e32 v2, 0x4f800000, v4
	v_rcp_f32_e32 v2, v2
	v_mul_f32_e32 v2, 0x5f7ffffc, v2
	v_mul_f32_e32 v4, 0x2f800000, v2
	v_trunc_f32_e32 v4, v4
	v_fmac_f32_e32 v2, 0xcf800000, v4
	v_cvt_u32_f32_e32 v4, v4
	v_cvt_u32_f32_e32 v2, v2
	v_mul_lo_u32 v9, s0, v4
	v_mul_hi_u32 v10, s0, v2
	v_mul_lo_u32 v11, s20, v2
	v_add_nc_u32_e32 v9, v10, v9
	v_mul_lo_u32 v10, s0, v2
	v_add_nc_u32_e32 v9, v9, v11
	v_mul_hi_u32 v11, v2, v10
	v_mul_lo_u32 v12, v2, v9
	v_mul_hi_u32 v13, v2, v9
	v_mul_hi_u32 v14, v4, v10
	v_mul_lo_u32 v10, v4, v10
	v_mul_hi_u32 v15, v4, v9
	v_mul_lo_u32 v9, v4, v9
	v_add_co_u32 v11, vcc_lo, v11, v12
	v_add_co_ci_u32_e32 v12, vcc_lo, 0, v13, vcc_lo
	v_add_co_u32 v10, vcc_lo, v11, v10
	v_add_co_ci_u32_e32 v10, vcc_lo, v12, v14, vcc_lo
	v_add_co_ci_u32_e32 v11, vcc_lo, 0, v15, vcc_lo
	v_add_co_u32 v9, vcc_lo, v10, v9
	v_add_co_ci_u32_e32 v10, vcc_lo, 0, v11, vcc_lo
	v_add_co_u32 v2, vcc_lo, v2, v9
	v_add_co_ci_u32_e32 v4, vcc_lo, v4, v10, vcc_lo
	v_mul_hi_u32 v9, s0, v2
	v_mul_lo_u32 v11, s20, v2
	v_mul_lo_u32 v10, s0, v4
	v_add_nc_u32_e32 v9, v9, v10
	v_mul_lo_u32 v10, s0, v2
	v_add_nc_u32_e32 v9, v9, v11
	v_mul_hi_u32 v11, v2, v10
	v_mul_lo_u32 v12, v2, v9
	v_mul_hi_u32 v13, v2, v9
	v_mul_hi_u32 v14, v4, v10
	v_mul_lo_u32 v10, v4, v10
	v_mul_hi_u32 v15, v4, v9
	v_mul_lo_u32 v9, v4, v9
	v_add_co_u32 v11, vcc_lo, v11, v12
	v_add_co_ci_u32_e32 v12, vcc_lo, 0, v13, vcc_lo
	v_add_co_u32 v10, vcc_lo, v11, v10
	v_add_co_ci_u32_e32 v10, vcc_lo, v12, v14, vcc_lo
	v_add_co_ci_u32_e32 v11, vcc_lo, 0, v15, vcc_lo
	v_add_co_u32 v9, vcc_lo, v10, v9
	v_add_co_ci_u32_e32 v10, vcc_lo, 0, v11, vcc_lo
	v_add_co_u32 v2, vcc_lo, v2, v9
	v_add_co_ci_u32_e32 v4, vcc_lo, v4, v10, vcc_lo
	v_mul_hi_u32 v15, v7, v2
	v_mad_u64_u32 v[11:12], null, v8, v2, 0
	v_mad_u64_u32 v[9:10], null, v7, v4, 0
	v_mad_u64_u32 v[13:14], null, v8, v4, 0
	v_add_co_u32 v2, vcc_lo, v15, v9
	v_add_co_ci_u32_e32 v4, vcc_lo, 0, v10, vcc_lo
	v_add_co_u32 v2, vcc_lo, v2, v11
	v_add_co_ci_u32_e32 v2, vcc_lo, v4, v12, vcc_lo
	v_add_co_ci_u32_e32 v4, vcc_lo, 0, v14, vcc_lo
	v_add_co_u32 v2, vcc_lo, v2, v13
	v_add_co_ci_u32_e32 v4, vcc_lo, 0, v4, vcc_lo
	v_mul_lo_u32 v11, s19, v2
	v_mad_u64_u32 v[9:10], null, s18, v2, 0
	v_mul_lo_u32 v12, s18, v4
	v_sub_co_u32 v9, vcc_lo, v7, v9
	v_add3_u32 v10, v10, v12, v11
	v_sub_nc_u32_e32 v11, v8, v10
	v_subrev_co_ci_u32_e64 v11, s0, s19, v11, vcc_lo
	v_add_co_u32 v12, s0, v2, 2
	v_add_co_ci_u32_e64 v13, s0, 0, v4, s0
	v_sub_co_u32 v14, s0, v9, s18
	v_sub_co_ci_u32_e32 v10, vcc_lo, v8, v10, vcc_lo
	v_subrev_co_ci_u32_e64 v11, s0, 0, v11, s0
	v_cmp_le_u32_e32 vcc_lo, s18, v14
	v_cmp_eq_u32_e64 s0, s19, v10
	v_cndmask_b32_e64 v14, 0, -1, vcc_lo
	v_cmp_le_u32_e32 vcc_lo, s19, v11
	v_cndmask_b32_e64 v15, 0, -1, vcc_lo
	v_cmp_le_u32_e32 vcc_lo, s18, v9
	;; [unrolled: 2-line block ×3, first 2 shown]
	v_cndmask_b32_e64 v16, 0, -1, vcc_lo
	v_cmp_eq_u32_e32 vcc_lo, s19, v11
	v_cndmask_b32_e64 v9, v16, v9, s0
	v_cndmask_b32_e32 v11, v15, v14, vcc_lo
	v_add_co_u32 v14, vcc_lo, v2, 1
	v_add_co_ci_u32_e32 v15, vcc_lo, 0, v4, vcc_lo
	v_cmp_ne_u32_e32 vcc_lo, 0, v11
	v_cndmask_b32_e32 v10, v15, v13, vcc_lo
	v_cndmask_b32_e32 v11, v14, v12, vcc_lo
	v_cmp_ne_u32_e32 vcc_lo, 0, v9
	v_cndmask_b32_e32 v14, v4, v10, vcc_lo
	v_cndmask_b32_e32 v13, v2, v11, vcc_lo
.LBB0_4:                                ;   in Loop: Header=BB0_2 Depth=1
	s_andn2_saveexec_b32 s0, s1
	s_cbranch_execz .LBB0_6
; %bb.5:                                ;   in Loop: Header=BB0_2 Depth=1
	v_cvt_f32_u32_e32 v2, s18
	s_sub_i32 s1, 0, s18
	v_mov_b32_e32 v14, v3
	v_rcp_iflag_f32_e32 v2, v2
	v_mul_f32_e32 v2, 0x4f7ffffe, v2
	v_cvt_u32_f32_e32 v2, v2
	v_mul_lo_u32 v4, s1, v2
	v_mul_hi_u32 v4, v2, v4
	v_add_nc_u32_e32 v2, v2, v4
	v_mul_hi_u32 v2, v7, v2
	v_mul_lo_u32 v4, v2, s18
	v_add_nc_u32_e32 v9, 1, v2
	v_sub_nc_u32_e32 v4, v7, v4
	v_subrev_nc_u32_e32 v10, s18, v4
	v_cmp_le_u32_e32 vcc_lo, s18, v4
	v_cndmask_b32_e32 v4, v4, v10, vcc_lo
	v_cndmask_b32_e32 v2, v2, v9, vcc_lo
	v_cmp_le_u32_e32 vcc_lo, s18, v4
	v_add_nc_u32_e32 v9, 1, v2
	v_cndmask_b32_e32 v13, v2, v9, vcc_lo
.LBB0_6:                                ;   in Loop: Header=BB0_2 Depth=1
	s_or_b32 exec_lo, exec_lo, s0
	s_load_dwordx2 s[0:1], s[6:7], 0x0
	v_mul_lo_u32 v2, v14, s18
	v_mul_lo_u32 v4, v13, s19
	v_mad_u64_u32 v[9:10], null, v13, s18, 0
	s_add_u32 s16, s16, 1
	s_addc_u32 s17, s17, 0
	s_add_u32 s6, s6, 8
	s_addc_u32 s7, s7, 0
	;; [unrolled: 2-line block ×3, first 2 shown]
	v_add3_u32 v2, v10, v4, v2
	v_sub_co_u32 v4, vcc_lo, v7, v9
	v_sub_co_ci_u32_e32 v2, vcc_lo, v8, v2, vcc_lo
	s_waitcnt lgkmcnt(0)
	v_mul_lo_u32 v7, s1, v4
	v_mul_lo_u32 v2, s0, v2
	v_mad_u64_u32 v[5:6], null, s0, v4, v[5:6]
	v_cmp_ge_u64_e64 s0, s[16:17], s[10:11]
	s_and_b32 vcc_lo, exec_lo, s0
	v_add3_u32 v6, v7, v6, v2
	s_cbranch_vccnz .LBB0_8
; %bb.7:                                ;   in Loop: Header=BB0_2 Depth=1
	v_mov_b32_e32 v7, v13
	v_mov_b32_e32 v8, v14
	s_branch .LBB0_2
.LBB0_8:
	s_lshl_b64 s[0:1], s[10:11], 3
	v_mul_hi_u32 v2, 0xf0f0f10, v0
	s_add_u32 s0, s12, s0
	s_addc_u32 s1, s13, s1
	v_mov_b32_e32 v3, 0
	s_load_dwordx2 s[0:1], s[0:1], 0x0
	s_load_dwordx2 s[4:5], s[4:5], 0x20
	v_mov_b32_e32 v4, 0
                                        ; implicit-def: $vgpr20
                                        ; implicit-def: $vgpr24
                                        ; implicit-def: $vgpr30
                                        ; implicit-def: $vgpr22
                                        ; implicit-def: $vgpr37
                                        ; implicit-def: $vgpr28
                                        ; implicit-def: $vgpr39
                                        ; implicit-def: $vgpr26
	v_mul_u32_u24_e32 v2, 17, v2
	v_mov_b32_e32 v10, v4
	v_mov_b32_e32 v16, v4
	;; [unrolled: 1-line block ×6, first 2 shown]
	v_sub_nc_u32_e32 v32, v0, v2
	s_waitcnt lgkmcnt(0)
	v_mul_lo_u32 v7, s0, v14
	v_mul_lo_u32 v8, s1, v13
	v_mad_u64_u32 v[17:18], null, s0, v13, v[5:6]
	v_mov_b32_e32 v6, v4
	v_cmp_gt_u64_e32 vcc_lo, s[4:5], v[13:14]
	v_mov_b32_e32 v14, v4
	v_mov_b32_e32 v5, v3
	;; [unrolled: 1-line block ×3, first 2 shown]
	v_add3_u32 v18, v8, v18, v7
	v_mov_b32_e32 v8, v4
	v_mov_b32_e32 v7, v3
	v_lshlrev_b64 v[34:35], 3, v[17:18]
	v_mov_b32_e32 v18, v4
	v_mov_b32_e32 v17, v3
	s_and_saveexec_b32 s1, vcc_lo
; %bb.9:
	v_mov_b32_e32 v33, 0
	v_add_co_u32 v0, s0, s2, v34
	v_add_co_ci_u32_e64 v4, s0, s3, v35, s0
	v_lshlrev_b64 v[2:3], 3, v[32:33]
	v_add_co_u32 v25, s0, v0, v2
	v_add_co_ci_u32_e64 v26, s0, v4, v3, s0
	s_clause 0xf
	global_load_dwordx2 v[3:4], v[25:26], off
	global_load_dwordx2 v[7:8], v[25:26], off offset:136
	global_load_dwordx2 v[9:10], v[25:26], off offset:272
	global_load_dwordx2 v[13:14], v[25:26], off offset:408
	global_load_dwordx2 v[5:6], v[25:26], off offset:544
	global_load_dwordx2 v[11:12], v[25:26], off offset:680
	global_load_dwordx2 v[15:16], v[25:26], off offset:816
	global_load_dwordx2 v[17:18], v[25:26], off offset:952
	global_load_dwordx2 v[19:20], v[25:26], off offset:1088
	global_load_dwordx2 v[23:24], v[25:26], off offset:1224
	global_load_dwordx2 v[29:30], v[25:26], off offset:1360
	global_load_dwordx2 v[21:22], v[25:26], off offset:1496
	global_load_dwordx2 v[36:37], v[25:26], off offset:1632
	global_load_dwordx2 v[27:28], v[25:26], off offset:1768
	global_load_dwordx2 v[38:39], v[25:26], off offset:1904
	global_load_dwordx2 v[25:26], v[25:26], off offset:2040
; %bb.10:
	s_or_b32 exec_lo, exec_lo, s1
	v_mul_hi_u32 v0, 0x24924925, v1
	s_waitcnt vmcnt(3)
	v_sub_f32_e32 v33, v6, v37
	v_sub_f32_e32 v2, v3, v19
	;; [unrolled: 1-line block ×5, first 2 shown]
	s_waitcnt vmcnt(1)
	v_sub_f32_e32 v30, v15, v38
	v_sub_f32_e32 v36, v16, v39
	v_sub_nc_u32_e32 v37, v1, v0
	v_sub_f32_e32 v23, v7, v23
	v_sub_f32_e32 v24, v8, v24
	;; [unrolled: 1-line block ×4, first 2 shown]
	v_lshrrev_b32_e32 v37, 1, v37
	v_fma_f32 v3, v3, 2.0, -v2
	v_fma_f32 v21, v5, 2.0, -v31
	;; [unrolled: 1-line block ×4, first 2 shown]
	v_add_nc_u32_e32 v0, v37, v0
	v_fma_f32 v10, v15, 2.0, -v30
	s_waitcnt vmcnt(0)
	v_sub_f32_e32 v26, v18, v26
	v_fma_f32 v15, v16, 2.0, -v36
	v_fma_f32 v16, v7, 2.0, -v23
	v_lshrrev_b32_e32 v0, 2, v0
	v_fma_f32 v8, v8, 2.0, -v24
	v_fma_f32 v12, v12, 2.0, -v28
	v_sub_f32_e32 v37, v3, v21
	v_sub_f32_e32 v36, v19, v36
	v_mul_lo_u32 v0, v0, 7
	v_sub_f32_e32 v7, v9, v10
	v_sub_f32_e32 v27, v11, v27
	;; [unrolled: 1-line block ×4, first 2 shown]
	v_fma_f32 v3, v3, 2.0, -v37
	v_fma_f32 v9, v9, 2.0, -v7
	;; [unrolled: 1-line block ×3, first 2 shown]
	v_sub_nc_u32_e32 v0, v1, v0
	v_sub_f32_e32 v1, v2, v33
	v_sub_f32_e32 v12, v8, v12
	;; [unrolled: 1-line block ×4, first 2 shown]
	v_mul_u32_u24_e32 v41, 0x110, v0
	v_fma_f32 v0, v2, 2.0, -v1
	v_add_f32_e32 v2, v30, v29
	v_add_f32_e32 v43, v27, v24
	v_fma_f32 v22, v8, 2.0, -v12
	v_fma_f32 v8, v23, 2.0, -v19
	v_add_f32_e32 v44, v25, v39
	v_sub_f32_e32 v48, v3, v9
	v_fma_f32 v9, v38, 2.0, -v40
	v_fma_f32 v11, v11, 2.0, -v27
	;; [unrolled: 1-line block ×4, first 2 shown]
	v_sub_f32_e32 v21, v5, v15
	v_fma_f32 v15, v29, 2.0, -v2
	v_fma_f32 v30, v24, 2.0, -v43
	v_fmamk_f32 v49, v10, 0xbf3504f3, v0
	v_fma_f32 v27, v39, 2.0, -v44
	v_fmamk_f32 v29, v9, 0xbf3504f3, v8
	v_fma_f32 v13, v13, 2.0, -v38
	v_fma_f32 v17, v17, 2.0, -v25
	v_sub_f32_e32 v11, v16, v11
	v_sub_f32_e32 v18, v14, v18
	v_fmac_f32_e32 v49, 0xbf3504f3, v15
	v_fmamk_f32 v25, v27, 0xbf3504f3, v30
	v_fmac_f32_e32 v29, 0xbf3504f3, v27
	v_sub_f32_e32 v17, v13, v17
	v_sub_f32_e32 v38, v37, v21
	v_mul_f32_e32 v26, 0x3f3504f3, v15
	v_fmamk_f32 v39, v36, 0x3f3504f3, v1
	v_fma_f32 v15, v0, 2.0, -v49
	v_mul_f32_e32 v42, 0x3f3504f3, v36
	v_fmac_f32_e32 v25, 0x3f3504f3, v9
	v_fma_f32 v36, v8, 2.0, -v29
	v_fmamk_f32 v28, v40, 0x3f3504f3, v19
	v_sub_f32_e32 v51, v11, v18
	v_fma_f32 v16, v16, 2.0, -v11
	v_fma_f32 v13, v13, 2.0, -v17
	;; [unrolled: 1-line block ×3, first 2 shown]
	v_fmac_f32_e32 v39, 0xbf3504f3, v2
	v_mul_f32_e32 v45, 0x3f3504f3, v2
	v_fmamk_f32 v27, v44, 0x3f3504f3, v43
	v_add_f32_e32 v52, v12, v17
	v_fma_f32 v30, v30, 2.0, -v25
	v_fmac_f32_e32 v28, 0xbf3504f3, v44
	v_fma_f32 v2, v11, 2.0, -v51
	v_fmamk_f32 v9, v36, 0xbf6c835e, v15
	v_fma_f32 v14, v14, 2.0, -v18
	v_mul_f32_e32 v23, 0x3f3504f3, v10
	v_sub_f32_e32 v24, v16, v13
	v_fma_f32 v50, v1, 2.0, -v39
	v_fmac_f32_e32 v27, 0x3f3504f3, v40
	v_fma_f32 v53, v12, 2.0, -v52
	v_fma_f32 v40, v19, 2.0, -v28
	v_fmamk_f32 v10, v2, 0xbf3504f3, v37
	v_fmac_f32_e32 v9, 0xbec3ef15, v30
	v_fma_f32 v3, v3, 2.0, -v48
	v_fma_f32 v0, v16, 2.0, -v24
	v_fma_f32 v43, v43, 2.0, -v27
	v_fmamk_f32 v11, v40, 0xbec3ef15, v50
	v_sub_f32_e32 v47, v22, v14
	v_fmac_f32_e32 v10, 0xbf3504f3, v53
	v_fma_f32 v1, v15, 2.0, -v9
	v_fmamk_f32 v13, v29, 0x3ec3ef15, v49
	v_fmamk_f32 v14, v51, 0x3f3504f3, v38
	;; [unrolled: 1-line block ×3, first 2 shown]
	v_sub_f32_e32 v8, v3, v0
	v_fmac_f32_e32 v11, 0xbf6c835e, v43
	v_mul_f32_e32 v46, 0x3f3504f3, v2
	v_fma_f32 v2, v37, 2.0, -v10
	v_sub_f32_e32 v12, v48, v47
	v_fmac_f32_e32 v13, 0xbf6c835e, v25
	v_fmac_f32_e32 v14, 0xbf3504f3, v52
	v_lshl_add_u32 v37, v32, 6, 0
	v_fmac_f32_e32 v15, 0xbec3ef15, v27
	v_fma_f32 v0, v3, 2.0, -v8
	v_fma_f32 v3, v50, 2.0, -v11
	;; [unrolled: 1-line block ×5, first 2 shown]
	v_lshl_add_u32 v44, v41, 2, v37
	v_fma_f32 v19, v39, 2.0, -v15
	v_mul_f32_e32 v49, 0x3f3504f3, v53
	v_mul_f32_e32 v48, 0x3f3504f3, v51
	;; [unrolled: 1-line block ×3, first 2 shown]
	v_cmp_gt_u32_e64 s0, 16, v32
	v_lshlrev_b32_e32 v39, 2, v41
	v_lshlrev_b32_e32 v41, 2, v32
	ds_write2_b64 v44, v[0:1], v[2:3] offset1:1
	ds_write2_b64 v44, v[16:17], v[18:19] offset0:2 offset1:3
	ds_write2_b64 v44, v[8:9], v[10:11] offset0:4 offset1:5
	;; [unrolled: 1-line block ×3, first 2 shown]
	s_waitcnt lgkmcnt(0)
	s_barrier
	buffer_gl0_inv
                                        ; implicit-def: $vgpr38
	s_and_saveexec_b32 s1, s0
	s_cbranch_execz .LBB0_12
; %bb.11:
	v_mul_i32_i24_e32 v0, 0xffffffc4, v32
	v_add3_u32 v3, v37, v0, v39
	v_add3_u32 v0, 0, v39, v41
	ds_read2_b32 v[11:12], v3 offset0:48 offset1:64
	v_add_nc_u32_e32 v1, 0x200, v3
	ds_read2_b32 v[51:52], v3 offset0:112 offset1:128
	ds_read2_b32 v[53:54], v3 offset0:176 offset1:192
	;; [unrolled: 1-line block ×3, first 2 shown]
	ds_read_b32 v0, v0
	ds_read2_b32 v[1:2], v3 offset0:16 offset1:32
	ds_read2_b32 v[17:18], v3 offset0:80 offset1:96
	;; [unrolled: 1-line block ×4, first 2 shown]
	s_waitcnt lgkmcnt(7)
	v_mov_b32_e32 v19, v51
	v_mov_b32_e32 v8, v52
	s_waitcnt lgkmcnt(5)
	v_mov_b32_e32 v15, v37
	v_mov_b32_e32 v3, v11
	;; [unrolled: 1-line block ×5, first 2 shown]
.LBB0_12:
	s_or_b32 exec_lo, exec_lo, s1
	v_sub_f32_e32 v20, v4, v20
	v_fma_f32 v6, v6, 2.0, -v33
	v_fma_f32 v5, v5, 2.0, -v21
	;; [unrolled: 1-line block ×3, first 2 shown]
	s_waitcnt lgkmcnt(0)
	v_add_f32_e32 v31, v31, v20
	v_fma_f32 v4, v4, 2.0, -v20
	s_barrier
	buffer_gl0_inv
	v_fma_f32 v20, v20, 2.0, -v31
	v_sub_f32_e32 v6, v4, v6
	v_add_f32_e32 v33, v31, v45
	v_sub_f32_e32 v21, v20, v26
	v_fma_f32 v4, v4, 2.0, -v6
	v_add_f32_e32 v7, v6, v7
	v_add_f32_e32 v33, v42, v33
	;; [unrolled: 1-line block ×3, first 2 shown]
	v_sub_f32_e32 v5, v4, v5
	v_fma_f32 v6, v6, 2.0, -v7
	v_fma_f32 v42, v31, 2.0, -v33
	v_add_f32_e32 v21, v7, v50
	v_fma_f32 v45, v20, 2.0, -v37
	v_fmamk_f32 v27, v27, 0x3f6c835e, v33
	v_fma_f32 v4, v4, 2.0, -v5
	v_sub_f32_e32 v31, v6, v49
	v_fmamk_f32 v23, v43, 0xbec3ef15, v42
	v_fmamk_f32 v25, v25, 0x3ec3ef15, v37
	v_add_f32_e32 v26, v48, v21
	v_fmamk_f32 v21, v30, 0xbf6c835e, v45
	v_add_f32_e32 v24, v5, v24
	v_fmac_f32_e32 v27, 0x3ec3ef15, v28
	v_sub_f32_e32 v20, v4, v22
	v_add_f32_e32 v22, v46, v31
	v_fmac_f32_e32 v23, 0x3f6c835e, v40
	v_fmac_f32_e32 v25, 0x3f6c835e, v29
	;; [unrolled: 1-line block ×3, first 2 shown]
	v_fma_f32 v28, v5, 2.0, -v24
	v_fma_f32 v30, v7, 2.0, -v26
	;; [unrolled: 1-line block ×8, first 2 shown]
	ds_write2_b64 v44, v[28:29], v[30:31] offset0:2 offset1:3
	ds_write2_b64 v44, v[4:5], v[6:7] offset1:1
	ds_write2_b64 v44, v[20:21], v[22:23] offset0:4 offset1:5
	ds_write2_b64 v44, v[24:25], v[26:27] offset0:6 offset1:7
	s_waitcnt lgkmcnt(0)
	s_barrier
	buffer_gl0_inv
                                        ; implicit-def: $vgpr40
	s_and_saveexec_b32 s1, s0
	s_cbranch_execnz .LBB0_15
; %bb.13:
	s_or_b32 exec_lo, exec_lo, s1
	s_and_b32 s0, vcc_lo, s0
	s_and_saveexec_b32 s1, s0
	s_cbranch_execnz .LBB0_16
.LBB0_14:
	s_endpgm
.LBB0_15:
	v_add3_u32 v7, 0, v41, v39
	v_add3_u32 v5, 0, v39, v41
	ds_read2_b32 v[23:24], v7 offset0:112 offset1:128
	v_add_nc_u32_e32 v4, 0x200, v7
	ds_read2_b32 v[27:28], v7 offset0:176 offset1:192
	ds_read2_b32 v[36:37], v7 offset0:48 offset1:64
	;; [unrolled: 1-line block ×3, first 2 shown]
	ds_read_b32 v4, v5
	ds_read2_b32 v[5:6], v7 offset0:16 offset1:32
	ds_read2_b32 v[29:30], v7 offset0:80 offset1:96
	;; [unrolled: 1-line block ×4, first 2 shown]
	s_waitcnt lgkmcnt(6)
	v_mov_b32_e32 v7, v36
	v_mov_b32_e32 v31, v23
	;; [unrolled: 1-line block ×6, first 2 shown]
	s_waitcnt lgkmcnt(5)
	v_mov_b32_e32 v27, v39
	s_or_b32 exec_lo, exec_lo, s1
	s_and_b32 s0, vcc_lo, s0
	s_and_saveexec_b32 s1, s0
	s_cbranch_execz .LBB0_14
.LBB0_16:
	v_lshlrev_b32_e32 v36, 4, v32
	v_mov_b32_e32 v37, 0
	v_lshlrev_b64 v[41:42], 3, v[36:37]
	v_add_co_u32 v41, vcc_lo, s8, v41
	v_add_co_ci_u32_e32 v42, vcc_lo, s9, v42, vcc_lo
	s_clause 0x7
	global_load_dwordx4 v[49:52], v[41:42], off offset:112
	global_load_dwordx4 v[43:46], v[41:42], off
	global_load_dwordx4 v[53:56], v[41:42], off offset:16
	global_load_dwordx4 v[57:60], v[41:42], off offset:96
	;; [unrolled: 1-line block ×6, first 2 shown]
	s_waitcnt vmcnt(7)
	v_mul_f32_e32 v33, v40, v51
	s_waitcnt vmcnt(6) lgkmcnt(3)
	v_mul_f32_e32 v48, v5, v43
	v_mul_f32_e32 v5, v5, v44
	;; [unrolled: 1-line block ×6, first 2 shown]
	v_fmac_f32_e32 v48, v1, v44
	v_fmac_f32_e32 v33, v38, v52
	v_mul_f32_e32 v77, v27, v50
	s_waitcnt vmcnt(5)
	v_mul_f32_e32 v40, v7, v53
	v_mul_f32_e32 v7, v7, v54
	s_waitcnt vmcnt(4) lgkmcnt(0)
	v_mul_f32_e32 v27, v26, v59
	v_mul_f32_e32 v79, v26, v60
	;; [unrolled: 1-line block ×4, first 2 shown]
	s_waitcnt vmcnt(3)
	v_mul_f32_e32 v25, v24, v63
	v_mul_f32_e32 v81, v24, v64
	s_waitcnt vmcnt(2)
	v_mul_f32_e32 v41, v29, v65
	v_mul_f32_e32 v82, v29, v66
	;; [unrolled: 1-line block ×4, first 2 shown]
	s_waitcnt vmcnt(1)
	v_mul_f32_e32 v30, v20, v71
	v_mul_f32_e32 v86, v20, v72
	v_fma_f32 v5, v1, v43, -v5
	v_fmac_f32_e32 v42, v2, v46
	v_fma_f32 v45, v2, v45, -v6
	v_fma_f32 v20, v38, v51, -v47
	v_fmac_f32_e32 v36, v15, v50
	v_add_f32_e32 v1, v33, v48
	v_sub_f32_e32 v6, v48, v33
	v_mul_f32_e32 v39, v28, v55
	v_mul_f32_e32 v78, v28, v56
	;; [unrolled: 1-line block ×6, first 2 shown]
	s_waitcnt vmcnt(0)
	v_mul_f32_e32 v23, v22, v75
	v_mul_f32_e32 v85, v22, v76
	;; [unrolled: 1-line block ×4, first 2 shown]
	v_fma_f32 v15, v15, v49, -v77
	v_fmac_f32_e32 v40, v3, v54
	v_fma_f32 v46, v3, v53, -v7
	v_fmac_f32_e32 v27, v14, v60
	v_fmac_f32_e32 v25, v12, v64
	v_fma_f32 v21, v12, v63, -v81
	v_fmac_f32_e32 v30, v8, v72
	v_fma_f32 v44, v8, v71, -v86
	v_sub_f32_e32 v2, v5, v20
	v_add_f32_e32 v3, v20, v5
	v_add_f32_e32 v63, v0, v5
	v_sub_f32_e32 v64, v42, v36
	v_mul_f32_e32 v5, 0x3ee437d1, v1
	v_mul_f32_e32 v8, 0xbe8c1d8e, v1
	;; [unrolled: 1-line block ×3, first 2 shown]
	v_fmac_f32_e32 v39, v16, v56
	v_fma_f32 v38, v16, v55, -v78
	v_fma_f32 v14, v14, v59, -v79
	v_fmac_f32_e32 v26, v13, v58
	v_fma_f32 v16, v13, v57, -v80
	v_fmac_f32_e32 v41, v17, v66
	;; [unrolled: 2-line block ×7, first 2 shown]
	v_fma_f32 v19, v9, v73, -v87
	v_add_f32_e32 v62, v4, v48
	v_add_f32_e32 v48, v36, v42
	v_add_f32_e32 v52, v15, v45
	v_sub_f32_e32 v67, v40, v27
	v_mul_f32_e32 v7, 0x3dbcf732, v1
	v_mul_f32_e32 v9, 0xbf1a4643, v1
	;; [unrolled: 1-line block ×14, first 2 shown]
	v_fmamk_f32 v131, v2, 0x3f65296c, v5
	v_fmamk_f32 v157, v2, 0x3f763a35, v8
	v_fmac_f32_e32 v8, 0xbf763a35, v2
	v_fmac_f32_e32 v5, 0xbf65296c, v2
	v_fmamk_f32 v167, v3, 0x3dbcf732, v121
	v_sub_f32_e32 v75, v45, v15
	v_add_f32_e32 v49, v27, v40
	v_add_f32_e32 v53, v14, v46
	v_mul_f32_e32 v91, 0xbf4c4adb, v64
	v_mul_f32_e32 v104, 0xbf7ba420, v48
	;; [unrolled: 1-line block ×6, first 2 shown]
	v_fmamk_f32 v156, v2, 0x3f7ee86f, v7
	v_fmamk_f32 v158, v2, 0x3f4c4adb, v9
	;; [unrolled: 1-line block ×4, first 2 shown]
	v_fmac_f32_e32 v11, 0xbe3c28d5, v2
	v_fmac_f32_e32 v10, 0xbf06c442, v2
	;; [unrolled: 1-line block ×4, first 2 shown]
	v_fmamk_f32 v2, v1, 0x3f3d2fb0, v12
	v_fma_f32 v12, 0x3f3d2fb0, v1, -v12
	v_fmamk_f32 v161, v1, 0x3f6eb680, v13
	v_fma_f32 v1, 0x3f6eb680, v1, -v13
	v_fmamk_f32 v163, v3, 0xbf59a7d5, v126
	v_fmamk_f32 v164, v3, 0xbf1a4643, v123
	v_fma_f32 v165, 0xbf1a4643, v3, -v123
	v_fmamk_f32 v166, v3, 0xbe8c1d8e, v122
	v_fma_f32 v122, 0xbe8c1d8e, v3, -v122
	v_fma_f32 v121, 0x3dbcf732, v3, -v121
	v_fmamk_f32 v168, v3, 0x3ee437d1, v113
	v_fma_f32 v174, 0x3f3d2fb0, v3, -v132
	v_fmac_f32_e32 v132, 0x3f3d2fb0, v3
	v_fma_f32 v177, 0x3f6eb680, v3, -v6
	v_fmac_f32_e32 v6, 0x3f6eb680, v3
	v_add_f32_e32 v186, v4, v8
	v_add_f32_e32 v188, v4, v5
	v_fmamk_f32 v5, v52, 0xbf7ba420, v98
	v_add_f32_e32 v8, v0, v167
	v_sub_f32_e32 v76, v46, v14
	v_add_f32_e32 v50, v26, v39
	v_sub_f32_e32 v68, v39, v26
	v_mul_f32_e32 v105, 0xbe8c1d8e, v49
	v_mul_f32_e32 v115, 0x3f3d2fb0, v49
	;; [unrolled: 1-line block ×6, first 2 shown]
	v_fmamk_f32 v13, v3, 0xbf7ba420, v127
	v_fma_f32 v162, 0xbf7ba420, v3, -v127
	v_fma_f32 v126, 0xbf59a7d5, v3, -v126
	v_fmamk_f32 v170, v52, 0xbf1a4643, v91
	v_fma_f32 v171, 0x3ee437d1, v3, -v113
	v_add_f32_e32 v183, v4, v131
	v_add_f32_e32 v156, v4, v156
	;; [unrolled: 1-line block ×14, first 2 shown]
	v_fmamk_f32 v4, v75, 0x3e3c28d5, v104
	v_add_f32_e32 v7, v0, v168
	v_add_f32_e32 v9, v0, v166
	v_add_f32_e32 v10, v0, v164
	v_add_f32_e32 v12, v0, v163
	v_add_f32_e32 v163, v0, v165
	v_add_f32_e32 v164, v0, v122
	v_add_f32_e32 v165, v0, v121
	v_add_f32_e32 v122, v0, v132
	v_add_f32_e32 v121, v0, v6
	v_fmamk_f32 v6, v75, 0xbf06c442, v114
	v_fmamk_f32 v132, v52, 0xbf59a7d5, v117
	;; [unrolled: 1-line block ×3, first 2 shown]
	v_add_f32_e32 v5, v8, v5
	v_fmamk_f32 v8, v75, 0xbf763a35, v124
	v_fmac_f32_e32 v114, 0x3f06c442, v75
	v_sub_f32_e32 v77, v38, v16
	v_add_f32_e32 v54, v16, v38
	v_add_f32_e32 v51, v25, v41
	v_mul_f32_e32 v116, 0x3ee437d1, v50
	v_mul_f32_e32 v119, 0xbf65296c, v68
	;; [unrolled: 1-line block ×5, first 2 shown]
	v_add_f32_e32 v13, v0, v13
	v_add_f32_e32 v161, v0, v162
	;; [unrolled: 1-line block ×6, first 2 shown]
	v_fmamk_f32 v0, v76, 0xbf763a35, v105
	v_add_f32_e32 v7, v7, v170
	v_fmamk_f32 v170, v76, 0xbf2c7751, v115
	v_add_f32_e32 v4, v156, v4
	;; [unrolled: 2-line block ×6, first 2 shown]
	v_fmac_f32_e32 v115, 0x3f2c7751, v76
	v_sub_f32_e32 v73, v47, v21
	v_add_f32_e32 v55, v24, v29
	v_mul_f32_e32 v89, 0x3e3c28d5, v67
	v_mul_f32_e32 v109, 0xbf7ba420, v51
	;; [unrolled: 1-line block ×4, first 2 shown]
	v_add_f32_e32 v6, v157, v6
	v_fmamk_f32 v157, v52, 0xbe8c1d8e, v125
	v_add_f32_e32 v132, v159, v132
	v_add_f32_e32 v12, v12, v158
	v_fmamk_f32 v158, v77, 0x3f65296c, v116
	v_add_f32_e32 v0, v4, v0
	v_fmamk_f32 v4, v54, 0x3ee437d1, v119
	;; [unrolled: 2-line block ×4, first 2 shown]
	v_add_f32_e32 v114, v114, v115
	v_fmac_f32_e32 v116, 0xbf65296c, v77
	v_sub_f32_e32 v69, v41, v25
	v_sub_f32_e32 v74, v43, v17
	v_add_f32_e32 v59, v23, v28
	v_mul_f32_e32 v87, 0x3f763a35, v68
	v_mul_f32_e32 v110, 0x3dbcf732, v55
	;; [unrolled: 1-line block ×3, first 2 shown]
	v_fmamk_f32 v173, v53, 0xbf7ba420, v89
	v_add_f32_e32 v10, v10, v157
	v_add_f32_e32 v6, v6, v170
	v_fmamk_f32 v170, v53, 0x3f6eb680, v130
	v_add_f32_e32 v132, v132, v156
	v_add_f32_e32 v12, v12, v168
	v_fmamk_f32 v168, v73, 0x3e3c28d5, v109
	v_add_f32_e32 v4, v9, v4
	v_fmamk_f32 v9, v77, 0xbf4c4adb, v146
	v_add_f32_e32 v114, v114, v116
	v_fmac_f32_e32 v109, 0xbe3c28d5, v73
	v_fmac_f32_e32 v104, 0xbe3c28d5, v75
	v_add_f32_e32 v56, v21, v47
	v_sub_f32_e32 v72, v31, v18
	v_sub_f32_e32 v65, v30, v22
	v_mul_f32_e32 v90, 0xbf1a4643, v48
	v_mul_f32_e32 v101, 0x3f6eb680, v50
	;; [unrolled: 1-line block ×4, first 2 shown]
	v_fmamk_f32 v176, v54, 0xbe8c1d8e, v87
	v_add_f32_e32 v7, v7, v173
	v_add_f32_e32 v10, v10, v170
	v_add_f32_e32 v6, v6, v158
	v_fmamk_f32 v158, v54, 0xbf59a7d5, v133
	v_add_f32_e32 v9, v132, v9
	v_fmamk_f32 v132, v74, 0xbf7ee86f, v110
	v_add_f32_e32 v109, v114, v109
	v_fmac_f32_e32 v110, 0x3f7ee86f, v74
	v_add_f32_e32 v104, v187, v104
	v_fmac_f32_e32 v105, 0x3f763a35, v76
	v_add_f32_e32 v57, v19, v44
	v_mul_f32_e32 v88, 0xbf7ba420, v49
	v_mul_f32_e32 v102, 0x3ee437d1, v51
	;; [unrolled: 1-line block ×3, first 2 shown]
	v_fmamk_f32 v169, v75, 0x3f4c4adb, v90
	v_fmamk_f32 v171, v77, 0xbeb8f4ab, v101
	v_add_f32_e32 v7, v7, v176
	v_add_f32_e32 v10, v10, v158
	v_fmamk_f32 v176, v72, 0x3eb8f4ab, v108
	v_add_f32_e32 v6, v6, v168
	v_fmamk_f32 v168, v56, 0x3dbcf732, v135
	v_add_f32_e32 v109, v109, v110
	v_fmac_f32_e32 v108, 0xbeb8f4ab, v72
	v_add_f32_e32 v104, v104, v105
	v_fmac_f32_e32 v101, 0x3eb8f4ab, v77
	v_fma_f32 v98, 0xbf7ba420, v52, -v98
	v_fmac_f32_e32 v90, 0xbf4c4adb, v75
	v_mul_f32_e32 v86, 0xbe8c1d8e, v50
	v_mul_f32_e32 v100, 0x3eb8f4ab, v68
	v_fmamk_f32 v172, v76, 0xbe3c28d5, v88
	v_fmamk_f32 v159, v73, 0x3f65296c, v102
	v_add_f32_e32 v10, v10, v168
	v_fmamk_f32 v168, v57, 0xbf1a4643, v107
	v_add_f32_e32 v105, v109, v108
	v_add_f32_e32 v101, v104, v101
	v_fmac_f32_e32 v102, 0xbf65296c, v73
	v_fma_f32 v104, 0xbf1a4643, v57, -v107
	v_add_f32_e32 v107, v165, v98
	v_fma_f32 v109, 0xbe8c1d8e, v53, -v99
	v_add_f32_e32 v90, v188, v90
	v_fmac_f32_e32 v88, 0x3e3c28d5, v76
	v_sub_f32_e32 v70, v29, v24
	v_mul_f32_e32 v84, 0x3f3d2fb0, v51
	v_mul_f32_e32 v95, 0xbf65296c, v69
	;; [unrolled: 1-line block ×3, first 2 shown]
	v_fmamk_f32 v175, v77, 0xbf763a35, v86
	v_add_f32_e32 v169, v183, v169
	v_fmamk_f32 v157, v54, 0x3f6eb680, v100
	v_add_f32_e32 v101, v101, v102
	v_add_f32_e32 v102, v107, v109
	v_fma_f32 v100, 0x3f6eb680, v54, -v100
	v_fma_f32 v91, 0xbf1a4643, v52, -v91
	v_add_f32_e32 v88, v90, v88
	v_fmac_f32_e32 v86, 0x3f763a35, v77
	v_add_f32_e32 v60, v17, v43
	v_sub_f32_e32 v71, v28, v23
	v_add_f32_e32 v58, v22, v30
	v_mul_f32_e32 v82, 0x3f6eb680, v55
	v_mul_f32_e32 v96, 0xbf06c442, v70
	;; [unrolled: 1-line block ×3, first 2 shown]
	v_fmamk_f32 v178, v73, 0xbf2c7751, v84
	v_add_f32_e32 v169, v169, v172
	v_fmamk_f32 v172, v56, 0x3ee437d1, v95
	v_fmamk_f32 v173, v74, 0x3f06c442, v103
	v_fmac_f32_e32 v103, 0xbf06c442, v74
	v_add_f32_e32 v100, v102, v100
	v_fma_f32 v95, 0x3ee437d1, v56, -v95
	v_add_f32_e32 v91, v166, v91
	v_fma_f32 v89, 0xbf7ba420, v53, -v89
	v_add_f32_e32 v86, v88, v86
	v_fmac_f32_e32 v84, 0x3f2c7751, v73
	v_add_f32_e32 v61, v18, v31
	v_sub_f32_e32 v66, v44, v19
	v_mul_f32_e32 v85, 0x3f2c7751, v69
	v_mul_f32_e32 v80, 0x3dbcf732, v59
	;; [unrolled: 1-line block ×5, first 2 shown]
	v_fmamk_f32 v3, v74, 0x3eb8f4ab, v82
	v_fmamk_f32 v170, v60, 0xbf59a7d5, v96
	;; [unrolled: 1-line block ×3, first 2 shown]
	v_add_f32_e32 v101, v101, v103
	v_fmac_f32_e32 v93, 0x3f4c4adb, v72
	v_add_f32_e32 v95, v100, v95
	v_fma_f32 v96, 0xbf59a7d5, v60, -v96
	v_add_f32_e32 v89, v91, v89
	v_fma_f32 v87, 0xbe8c1d8e, v54, -v87
	v_add_f32_e32 v84, v86, v84
	v_fmac_f32_e32 v82, 0xbeb8f4ab, v74
	v_mul_f32_e32 v83, 0xbeb8f4ab, v70
	v_mul_f32_e32 v78, 0xbf59a7d5, v58
	;; [unrolled: 1-line block ×6, first 2 shown]
	v_fmamk_f32 v179, v56, 0x3f3d2fb0, v85
	v_fmamk_f32 v181, v72, 0x3f7ee86f, v80
	v_add_f32_e32 v169, v169, v175
	v_fmamk_f32 v175, v66, 0xbf2c7751, v92
	v_add_f32_e32 v5, v5, v157
	;; [unrolled: 2-line block ×3, first 2 shown]
	v_fma_f32 v91, 0xbf1a4643, v61, -v97
	v_add_f32_e32 v87, v89, v87
	v_fma_f32 v85, 0x3f3d2fb0, v56, -v85
	v_add_f32_e32 v88, v101, v93
	v_fmac_f32_e32 v92, 0x3f2c7751, v66
	v_add_f32_e32 v84, v84, v82
	v_fmac_f32_e32 v80, 0xbf7ee86f, v72
	v_mul_f32_e32 v81, 0xbf7ee86f, v71
	v_mul_f32_e32 v79, 0xbf06c442, v65
	;; [unrolled: 1-line block ×4, first 2 shown]
	v_fmamk_f32 v180, v60, 0x3f6eb680, v83
	v_fmamk_f32 v1, v66, 0x3f06c442, v78
	v_add_f32_e32 v0, v0, v171
	v_fmamk_f32 v171, v56, 0xbf7ba420, v120
	v_add_f32_e32 v8, v8, v157
	;; [unrolled: 2-line block ×4, first 2 shown]
	v_add_f32_e32 v85, v87, v85
	v_fma_f32 v83, 0x3f6eb680, v60, -v83
	v_fma_f32 v86, 0x3f3d2fb0, v57, -v94
	v_add_f32_e32 v82, v88, v92
	v_add_f32_e32 v80, v84, v80
	v_fmac_f32_e32 v78, 0xbf06c442, v66
	v_mul_f32_e32 v88, 0xbf7ee86f, v64
	v_mul_f32_e32 v136, 0x3f3d2fb0, v55
	;; [unrolled: 1-line block ×3, first 2 shown]
	v_fmamk_f32 v182, v61, 0x3dbcf732, v81
	v_fmamk_f32 v2, v57, 0xbf59a7d5, v79
	v_add_f32_e32 v12, v12, v157
	v_add_f32_e32 v4, v4, v171
	v_fmamk_f32 v171, v73, 0x3eb8f4ab, v148
	v_add_f32_e32 v8, v8, v172
	v_fmamk_f32 v172, v56, 0x3f6eb680, v149
	v_add_f32_e32 v83, v85, v83
	v_fma_f32 v85, 0x3dbcf732, v61, -v81
	v_add_f32_e32 v81, v89, v86
	v_fma_f32 v86, 0xbf59a7d5, v57, -v79
	;; [unrolled: 2-line block ×3, first 2 shown]
	v_mul_f32_e32 v80, 0xbf4c4adb, v67
	v_mul_f32_e32 v138, 0xbf7ba420, v59
	;; [unrolled: 1-line block ×4, first 2 shown]
	v_add_f32_e32 v169, v169, v178
	v_add_f32_e32 v7, v7, v179
	;; [unrolled: 1-line block ×3, first 2 shown]
	v_fmamk_f32 v171, v74, 0x3f2c7751, v136
	v_add_f32_e32 v12, v12, v172
	v_fmamk_f32 v172, v60, 0x3f3d2fb0, v137
	v_add_f32_e32 v78, v167, v78
	v_fma_f32 v92, 0xbf1a4643, v53, -v80
	v_mul_f32_e32 v93, 0xbe3c28d5, v68
	v_mul_f32_e32 v111, 0x3f7ee86f, v70
	;; [unrolled: 1-line block ×6, first 2 shown]
	v_fmamk_f32 v174, v61, 0xbf1a4643, v97
	v_add_f32_e32 v0, v0, v159
	v_add_f32_e32 v3, v169, v3
	v_fmamk_f32 v169, v72, 0x3e3c28d5, v138
	v_add_f32_e32 v7, v7, v180
	v_fmamk_f32 v178, v61, 0xbf7ba420, v139
	v_add_f32_e32 v5, v5, v170
	v_add_f32_e32 v6, v6, v132
	v_fmamk_f32 v132, v74, 0x3e3c28d5, v150
	v_add_f32_e32 v8, v8, v171
	v_add_f32_e32 v10, v10, v172
	;; [unrolled: 1-line block ×3, first 2 shown]
	v_fma_f32 v92, 0xbf7ba420, v54, -v93
	v_mul_f32_e32 v95, 0x3f06c442, v69
	v_mul_f32_e32 v151, 0xbe3c28d5, v70
	;; [unrolled: 1-line block ×3, first 2 shown]
	v_fmamk_f32 v158, v57, 0x3f3d2fb0, v94
	v_fmamk_f32 v157, v60, 0x3dbcf732, v111
	;; [unrolled: 1-line block ×3, first 2 shown]
	v_add_f32_e32 v0, v0, v173
	v_fmamk_f32 v173, v66, 0xbf65296c, v140
	v_fmamk_f32 v170, v57, 0x3ee437d1, v141
	;; [unrolled: 1-line block ×3, first 2 shown]
	v_add_f32_e32 v9, v9, v132
	v_add_f32_e32 v7, v7, v182
	;; [unrolled: 1-line block ×8, first 2 shown]
	v_fma_f32 v97, 0xbf59a7d5, v56, -v95
	v_mul_f32_e32 v100, 0x3f763a35, v70
	v_add_f32_e32 v42, v62, v42
	v_add_f32_e32 v45, v63, v45
	;; [unrolled: 1-line block ×3, first 2 shown]
	v_fmamk_f32 v157, v60, 0xbf7ba420, v151
	v_add_f32_e32 v132, v0, v156
	v_add_f32_e32 v0, v7, v2
	;; [unrolled: 1-line block ×7, first 2 shown]
	v_fmamk_f32 v9, v75, 0xbeb8f4ab, v155
	v_mul_f32_e32 v10, 0xbf59a7d5, v49
	v_add_f32_e32 v78, v83, v86
	v_add_f32_e32 v83, v92, v97
	v_fma_f32 v86, 0xbe8c1d8e, v60, -v100
	v_mul_f32_e32 v92, 0xbf2c7751, v75
	v_add_f32_e32 v40, v42, v40
	v_add_f32_e32 v45, v45, v46
	v_mul_f32_e32 v112, 0xbeb8f4ab, v71
	v_mul_f32_e32 v154, 0xbe8c1d8e, v58
	v_add_f32_e32 v3, v3, v181
	v_add_f32_e32 v12, v12, v157
	;; [unrolled: 1-line block ×3, first 2 shown]
	v_fmamk_f32 v158, v76, 0x3f06c442, v10
	v_mul_f32_e32 v159, 0x3f3d2fb0, v50
	v_add_f32_e32 v83, v83, v86
	v_fmamk_f32 v86, v48, 0x3f3d2fb0, v92
	v_mul_f32_e32 v97, 0xbf65296c, v76
	v_add_f32_e32 v39, v40, v39
	v_add_f32_e32 v38, v45, v38
	v_fmamk_f32 v177, v61, 0x3f6eb680, v112
	v_add_f32_e32 v1, v3, v1
	v_add_f32_e32 v3, v132, v175
	v_fmamk_f32 v132, v66, 0x3f763a35, v154
	v_mul_f32_e32 v156, 0x3eb8f4ab, v64
	v_add_f32_e32 v157, v157, v158
	v_fmamk_f32 v158, v77, 0xbf2c7751, v159
	v_mul_f32_e32 v160, 0xbf1a4643, v51
	v_fmac_f32_e32 v159, 0x3f2c7751, v77
	v_fmac_f32_e32 v146, 0x3f4c4adb, v77
	;; [unrolled: 1-line block ×3, first 2 shown]
	v_mul_f32_e32 v90, 0xbe3c28d5, v77
	v_add_f32_e32 v86, v127, v86
	v_fmamk_f32 v103, v49, 0x3ee437d1, v97
	v_mul_f32_e32 v77, 0xbf7ee86f, v77
	v_add_f32_e32 v39, v39, v41
	v_add_f32_e32 v38, v38, v47
	;; [unrolled: 1-line block ×4, first 2 shown]
	v_fmamk_f32 v8, v52, 0x3f6eb680, v156
	v_mul_f32_e32 v132, 0xbf06c442, v67
	v_add_f32_e32 v157, v157, v158
	v_fmamk_f32 v158, v73, 0x3f4c4adb, v160
	v_fmac_f32_e32 v160, 0xbf4c4adb, v73
	v_fmac_f32_e32 v148, 0xbeb8f4ab, v73
	v_fmac_f32_e32 v134, 0x3f7ee86f, v73
	v_mul_f32_e32 v91, 0x3f06c442, v73
	v_add_f32_e32 v86, v86, v103
	v_fmamk_f32 v62, v50, 0x3dbcf732, v77
	v_mul_f32_e32 v73, 0xbf763a35, v73
	v_add_f32_e32 v29, v39, v29
	v_add_f32_e32 v38, v38, v43
	v_mul_f32_e32 v153, 0x3f2c7751, v71
	v_add_f32_e32 v4, v4, v168
	v_add_f32_e32 v8, v13, v8
	v_fmamk_f32 v13, v53, 0xbf59a7d5, v132
	v_mul_f32_e32 v168, 0x3f2c7751, v68
	v_add_f32_e32 v42, v86, v62
	v_fmamk_f32 v62, v51, 0xbe8c1d8e, v73
	v_mul_f32_e32 v63, 0xbf4c4adb, v74
	v_mul_f32_e32 v40, 0xbf2c7751, v64
	v_add_f32_e32 v28, v29, v28
	v_add_f32_e32 v31, v38, v31
	v_fmamk_f32 v172, v61, 0x3f3d2fb0, v153
	v_mul_f32_e32 v169, 0x3ee437d1, v55
	v_add_f32_e32 v8, v8, v13
	v_fmamk_f32 v13, v54, 0x3f3d2fb0, v168
	v_mul_f32_e32 v170, 0xbf4c4adb, v69
	v_add_f32_e32 v42, v42, v62
	v_fmamk_f32 v46, v55, 0xbf1a4643, v63
	v_fma_f32 v41, 0x3f3d2fb0, v52, -v40
	v_mul_f32_e32 v45, 0xbf65296c, v67
	v_add_f32_e32 v28, v28, v30
	v_add_f32_e32 v31, v31, v44
	v_add_f32_e32 v12, v12, v172
	v_mul_f32_e32 v171, 0xbf763a35, v65
	v_add_f32_e32 v157, v157, v158
	v_fmamk_f32 v158, v74, 0xbf65296c, v169
	v_add_f32_e32 v8, v8, v13
	v_fmamk_f32 v13, v56, 0xbf1a4643, v170
	v_mul_f32_e32 v172, 0x3f65296c, v70
	v_add_f32_e32 v42, v42, v46
	v_add_f32_e32 v39, v126, v41
	v_fma_f32 v41, 0x3ee437d1, v53, -v45
	v_mul_f32_e32 v46, 0xbf7ee86f, v68
	v_add_f32_e32 v22, v22, v28
	v_add_f32_e32 v19, v19, v31
	v_fmamk_f32 v173, v57, 0xbe8c1d8e, v171
	v_add_f32_e32 v157, v157, v158
	v_add_f32_e32 v13, v8, v13
	v_fmamk_f32 v158, v60, 0x3ee437d1, v172
	v_mul_f32_e32 v175, 0xbf763a35, v71
	v_mul_f32_e32 v87, 0xbf7ee86f, v75
	v_add_f32_e32 v39, v39, v41
	v_fma_f32 v41, 0x3dbcf732, v54, -v46
	v_mul_f32_e32 v30, 0xbf763a35, v69
	v_add_f32_e32 v22, v23, v22
	v_add_f32_e32 v18, v18, v19
	v_mul_f32_e32 v174, 0xbe8c1d8e, v59
	v_add_f32_e32 v8, v12, v173
	v_fmac_f32_e32 v155, 0x3eb8f4ab, v75
	v_add_f32_e32 v12, v13, v158
	v_fmamk_f32 v13, v61, 0xbe8c1d8e, v175
	v_fma_f32 v156, 0x3f6eb680, v52, -v156
	v_mul_f32_e32 v85, 0xbf4c4adb, v76
	v_add_f32_e32 v39, v39, v41
	v_fma_f32 v28, 0xbe8c1d8e, v56, -v30
	v_mul_f32_e32 v41, 0xbf4c4adb, v70
	v_add_f32_e32 v19, v24, v22
	v_fma_f32 v22, 0x3dbcf732, v48, -v87
	v_add_f32_e32 v17, v17, v18
	v_fmamk_f32 v176, v72, 0x3f763a35, v174
	v_add_f32_e32 v11, v11, v155
	v_fmac_f32_e32 v10, 0xbf06c442, v76
	v_add_f32_e32 v12, v12, v13
	v_mul_f32_e32 v13, 0x3dbcf732, v58
	v_add_f32_e32 v155, v161, v156
	v_fma_f32 v132, 0xbf59a7d5, v53, -v132
	v_add_f32_e32 v23, v39, v28
	v_fma_f32 v28, 0xbf1a4643, v60, -v41
	v_mul_f32_e32 v31, 0xbf06c442, v71
	v_add_f32_e32 v18, v25, v19
	v_add_f32_e32 v19, v123, v22
	v_fma_f32 v22, 0xbf1a4643, v49, -v85
	v_add_f32_e32 v17, v21, v17
	v_add_f32_e32 v157, v157, v176
	;; [unrolled: 1-line block ×3, first 2 shown]
	v_fmamk_f32 v11, v66, 0xbf7ee86f, v13
	v_mul_f32_e32 v156, 0x3f7ee86f, v65
	v_add_f32_e32 v132, v155, v132
	v_fma_f32 v155, 0x3f3d2fb0, v54, -v168
	v_fmamk_f32 v84, v48, 0x3dbcf732, v87
	v_mul_f32_e32 v29, 0xbf06c442, v72
	v_add_f32_e32 v23, v23, v28
	v_fma_f32 v24, 0xbf59a7d5, v61, -v31
	v_add_f32_e32 v18, v26, v18
	v_add_f32_e32 v19, v19, v22
	v_fma_f32 v21, 0xbf7ba420, v50, -v90
	v_add_f32_e32 v16, v16, v17
	v_add_f32_e32 v10, v10, v159
	v_add_f32_e32 v11, v157, v11
	v_fmamk_f32 v157, v57, 0x3dbcf732, v156
	v_add_f32_e32 v132, v132, v155
	v_fma_f32 v155, 0xbf1a4643, v56, -v170
	v_add_f32_e32 v84, v131, v84
	v_fmamk_f32 v89, v49, 0xbf1a4643, v85
	v_mul_f32_e32 v94, 0x3f763a35, v74
	v_fmamk_f32 v38, v59, 0xbf59a7d5, v29
	v_add_f32_e32 v23, v23, v24
	v_mul_f32_e32 v24, 0xbe3c28d5, v66
	v_add_f32_e32 v18, v27, v18
	v_add_f32_e32 v19, v19, v21
	v_fma_f32 v21, 0xbf59a7d5, v51, -v91
	v_add_f32_e32 v14, v14, v16
	v_add_f32_e32 v158, v10, v160
	;; [unrolled: 1-line block ×4, first 2 shown]
	v_fma_f32 v132, 0x3ee437d1, v60, -v172
	v_add_f32_e32 v84, v84, v89
	v_fmamk_f32 v89, v50, 0xbf7ba420, v90
	v_mul_f32_e32 v96, 0x3f65296c, v72
	v_add_f32_e32 v38, v42, v38
	v_mul_f32_e32 v22, 0xbe3c28d5, v65
	v_fmamk_f32 v25, v58, 0xbf7ba420, v24
	v_add_f32_e32 v18, v36, v18
	v_add_f32_e32 v19, v19, v21
	v_fma_f32 v21, 0xbe8c1d8e, v55, -v94
	v_fmac_f32_e32 v88, 0x3dbcf732, v52
	v_add_f32_e32 v14, v15, v14
	v_add_f32_e32 v12, v12, v132
	v_fma_f32 v132, 0xbe8c1d8e, v61, -v175
	v_fma_f32 v143, 0x3ee437d1, v52, -v143
	v_add_f32_e32 v84, v84, v89
	v_fmamk_f32 v89, v51, 0xbf59a7d5, v91
	v_add_f32_e32 v17, v38, v25
	v_fma_f32 v25, 0xbf7ba420, v57, -v22
	v_add_f32_e32 v15, v33, v18
	v_add_f32_e32 v18, v19, v21
	v_fma_f32 v19, 0x3ee437d1, v59, -v96
	v_add_f32_e32 v21, v122, v88
	v_fmac_f32_e32 v80, 0xbf1a4643, v53
	v_add_f32_e32 v14, v20, v14
	v_fma_f32 v20, 0x3f3d2fb0, v48, -v92
	v_fmac_f32_e32 v142, 0x3f65296c, v75
	v_add_f32_e32 v12, v12, v132
	v_add_f32_e32 v132, v162, v143
	v_fma_f32 v143, 0x3dbcf732, v53, -v145
	v_add_f32_e32 v84, v84, v89
	v_fmamk_f32 v89, v55, 0xbe8c1d8e, v94
	v_add_f32_e32 v16, v23, v25
	v_add_f32_e32 v23, v18, v19
	v_add_f32_e32 v18, v21, v80
	v_fmac_f32_e32 v93, 0xbf7ba420, v54
	v_add_f32_e32 v19, v113, v20
	v_fma_f32 v20, 0x3ee437d1, v49, -v97
	v_add_f32_e32 v142, v184, v142
	v_fmac_f32_e32 v144, 0xbf7ee86f, v76
	v_add_f32_e32 v132, v132, v143
	v_fma_f32 v143, 0xbf1a4643, v54, -v147
	v_fma_f32 v117, 0xbf59a7d5, v52, -v117
	v_add_f32_e32 v84, v84, v89
	v_fmamk_f32 v89, v59, 0x3ee437d1, v96
	v_add_f32_e32 v18, v18, v93
	v_fmac_f32_e32 v95, 0xbf59a7d5, v56
	v_add_f32_e32 v19, v19, v20
	v_fma_f32 v20, 0x3dbcf732, v50, -v77
	v_add_f32_e32 v142, v142, v144
	v_add_f32_e32 v132, v132, v143
	v_fma_f32 v143, 0x3f6eb680, v56, -v149
	v_fmac_f32_e32 v124, 0x3f763a35, v75
	v_fma_f32 v125, 0xbe8c1d8e, v52, -v125
	v_fmac_f32_e32 v40, 0x3f3d2fb0, v52
	v_add_f32_e32 v117, v164, v117
	v_fma_f32 v118, 0x3f3d2fb0, v53, -v118
	v_add_f32_e32 v75, v84, v89
	v_mul_f32_e32 v84, 0x3f65296c, v71
	v_add_f32_e32 v18, v18, v95
	v_fmac_f32_e32 v100, 0xbe8c1d8e, v60
	v_add_f32_e32 v19, v19, v20
	v_fma_f32 v20, 0xbe8c1d8e, v51, -v73
	v_add_f32_e32 v142, v142, v146
	v_add_f32_e32 v132, v132, v143
	v_fma_f32 v143, 0xbf7ba420, v60, -v151
	v_add_f32_e32 v124, v185, v124
	v_fmac_f32_e32 v128, 0xbeb8f4ab, v76
	v_add_f32_e32 v125, v163, v125
	v_fma_f32 v130, 0x3f6eb680, v53, -v130
	v_add_f32_e32 v21, v121, v40
	v_fmac_f32_e32 v45, 0x3ee437d1, v53
	v_add_f32_e32 v115, v117, v118
	v_fma_f32 v117, 0x3ee437d1, v54, -v119
	v_fma_f32 v76, 0x3ee437d1, v61, -v84
	v_add_f32_e32 v18, v18, v100
	v_fmac_f32_e32 v84, 0x3ee437d1, v61
	v_add_f32_e32 v19, v19, v20
	v_fma_f32 v20, 0xbf1a4643, v55, -v63
	v_add_f32_e32 v142, v142, v148
	v_fmac_f32_e32 v150, 0xbe3c28d5, v74
	v_add_f32_e32 v132, v132, v143
	v_fma_f32 v143, 0x3f3d2fb0, v61, -v153
	v_add_f32_e32 v124, v124, v128
	v_add_f32_e32 v125, v125, v130
	v_fma_f32 v128, 0xbf59a7d5, v54, -v133
	v_add_f32_e32 v21, v21, v45
	v_fmac_f32_e32 v46, 0x3dbcf732, v54
	v_add_f32_e32 v116, v115, v117
	v_fma_f32 v117, 0xbf7ba420, v56, -v120
	v_mul_f32_e32 v89, 0x3eb8f4ab, v66
	v_add_f32_e32 v26, v18, v84
	v_add_f32_e32 v18, v19, v20
	v_fma_f32 v19, 0xbf59a7d5, v59, -v29
	v_mov_b32_e32 v33, v37
	v_add_f32_e32 v142, v142, v150
	v_fmac_f32_e32 v152, 0x3f2c7751, v72
	v_add_f32_e32 v132, v132, v143
	v_add_f32_e32 v124, v124, v129
	;; [unrolled: 1-line block ×3, first 2 shown]
	v_fma_f32 v129, 0xbe8c1d8e, v57, -v171
	v_fma_f32 v133, 0x3dbcf732, v56, -v135
	v_add_f32_e32 v21, v21, v46
	v_fmac_f32_e32 v30, 0xbe8c1d8e, v56
	v_fmac_f32_e32 v169, 0x3f65296c, v74
	v_add_f32_e32 v114, v116, v117
	v_fma_f32 v111, 0x3dbcf732, v60, -v111
	v_fmamk_f32 v101, v58, 0x3f6eb680, v89
	v_mul_f32_e32 v102, 0x3eb8f4ab, v65
	v_add_f32_e32 v27, v18, v19
	v_lshlrev_b64 v[18:19], 3, v[32:33]
	v_add_f32_e32 v130, v142, v152
	v_fmac_f32_e32 v154, 0xbf763a35, v66
	v_add_f32_e32 v134, v124, v134
	v_fmac_f32_e32 v136, 0xbf2c7751, v74
	v_add_f32_e32 v124, v132, v129
	v_add_f32_e32 v128, v128, v133
	v_fma_f32 v129, 0x3f3d2fb0, v60, -v137
	v_add_co_u32 v29, vcc_lo, s2, v34
	v_add_f32_e32 v21, v21, v30
	v_add_co_ci_u32_e32 v30, vcc_lo, s3, v35, vcc_lo
	v_add_f32_e32 v155, v158, v169
	v_fmac_f32_e32 v174, 0xbf763a35, v72
	v_add_f32_e32 v110, v114, v111
	v_fma_f32 v111, 0x3f6eb680, v61, -v112
	v_add_f32_e32 v83, v83, v76
	v_add_f32_e32 v76, v75, v101
	v_fma_f32 v75, 0x3f6eb680, v57, -v102
	v_add_f32_e32 v125, v130, v154
	v_add_f32_e32 v130, v134, v136
	v_fmac_f32_e32 v138, 0xbe3c28d5, v72
	v_add_f32_e32 v128, v128, v129
	v_fma_f32 v129, 0xbf7ba420, v61, -v139
	v_fmac_f32_e32 v41, 0xbf1a4643, v60
	v_add_co_u32 v18, vcc_lo, v29, v18
	v_add_co_ci_u32_e32 v19, vcc_lo, v30, v19, vcc_lo
	v_or_b32_e32 v36, 0x100, v32
	v_add_f32_e32 v144, v155, v174
	v_fmac_f32_e32 v13, 0x3f7ee86f, v66
	v_fma_f32 v145, 0x3dbcf732, v57, -v156
	v_add_f32_e32 v108, v110, v111
	v_fmac_f32_e32 v106, 0xbf4c4adb, v66
	v_add_f32_e32 v75, v83, v75
	v_add_f32_e32 v130, v130, v138
	;; [unrolled: 1-line block ×3, first 2 shown]
	v_fmac_f32_e32 v140, 0x3f65296c, v66
	v_fma_f32 v118, 0x3ee437d1, v57, -v141
	v_add_f32_e32 v20, v21, v41
	v_fmac_f32_e32 v31, 0xbf59a7d5, v61
	global_store_dwordx2 v[18:19], v[14:15], off
	global_store_dwordx2 v[18:19], v[16:17], off offset:128
	global_store_dwordx2 v[18:19], v[75:76], off offset:256
	;; [unrolled: 1-line block ×3, first 2 shown]
	v_lshlrev_b64 v[14:15], 3, v[36:37]
	v_add_f32_e32 v13, v144, v13
	v_add_f32_e32 v12, v12, v145
	;; [unrolled: 1-line block ×4, first 2 shown]
	v_fma_f32 v25, 0x3f6eb680, v58, -v89
	v_fmac_f32_e32 v102, 0x3f6eb680, v57
	v_add_f32_e32 v115, v130, v140
	v_add_f32_e32 v114, v128, v118
	v_fma_f32 v24, 0xbf7ba420, v58, -v24
	v_add_f32_e32 v28, v20, v31
	v_fmac_f32_e32 v22, 0xbf7ba420, v57
	global_store_dwordx2 v[18:19], v[81:82], off offset:512
	global_store_dwordx2 v[18:19], v[98:99], off offset:640
	;; [unrolled: 1-line block ×8, first 2 shown]
	v_add_co_u32 v6, vcc_lo, v29, v14
	v_add_f32_e32 v21, v23, v25
	v_add_f32_e32 v20, v26, v102
	;; [unrolled: 1-line block ×4, first 2 shown]
	v_add_co_ci_u32_e32 v7, vcc_lo, v30, v15, vcc_lo
	global_store_dwordx2 v[18:19], v[4:5], off offset:1536
	global_store_dwordx2 v[18:19], v[2:3], off offset:1664
	;; [unrolled: 1-line block ×4, first 2 shown]
	global_store_dwordx2 v[6:7], v[22:23], off
	s_endpgm
	.section	.rodata,"a",@progbits
	.p2align	6, 0x0
	.amdhsa_kernel fft_rtc_fwd_len272_factors_16_17_wgs_119_tpt_17_halfLds_sp_ip_CI_unitstride_sbrr_dirReg
		.amdhsa_group_segment_fixed_size 0
		.amdhsa_private_segment_fixed_size 0
		.amdhsa_kernarg_size 88
		.amdhsa_user_sgpr_count 6
		.amdhsa_user_sgpr_private_segment_buffer 1
		.amdhsa_user_sgpr_dispatch_ptr 0
		.amdhsa_user_sgpr_queue_ptr 0
		.amdhsa_user_sgpr_kernarg_segment_ptr 1
		.amdhsa_user_sgpr_dispatch_id 0
		.amdhsa_user_sgpr_flat_scratch_init 0
		.amdhsa_user_sgpr_private_segment_size 0
		.amdhsa_wavefront_size32 1
		.amdhsa_uses_dynamic_stack 0
		.amdhsa_system_sgpr_private_segment_wavefront_offset 0
		.amdhsa_system_sgpr_workgroup_id_x 1
		.amdhsa_system_sgpr_workgroup_id_y 0
		.amdhsa_system_sgpr_workgroup_id_z 0
		.amdhsa_system_sgpr_workgroup_info 0
		.amdhsa_system_vgpr_workitem_id 0
		.amdhsa_next_free_vgpr 189
		.amdhsa_next_free_sgpr 21
		.amdhsa_reserve_vcc 1
		.amdhsa_reserve_flat_scratch 0
		.amdhsa_float_round_mode_32 0
		.amdhsa_float_round_mode_16_64 0
		.amdhsa_float_denorm_mode_32 3
		.amdhsa_float_denorm_mode_16_64 3
		.amdhsa_dx10_clamp 1
		.amdhsa_ieee_mode 1
		.amdhsa_fp16_overflow 0
		.amdhsa_workgroup_processor_mode 1
		.amdhsa_memory_ordered 1
		.amdhsa_forward_progress 0
		.amdhsa_shared_vgpr_count 0
		.amdhsa_exception_fp_ieee_invalid_op 0
		.amdhsa_exception_fp_denorm_src 0
		.amdhsa_exception_fp_ieee_div_zero 0
		.amdhsa_exception_fp_ieee_overflow 0
		.amdhsa_exception_fp_ieee_underflow 0
		.amdhsa_exception_fp_ieee_inexact 0
		.amdhsa_exception_int_div_zero 0
	.end_amdhsa_kernel
	.text
.Lfunc_end0:
	.size	fft_rtc_fwd_len272_factors_16_17_wgs_119_tpt_17_halfLds_sp_ip_CI_unitstride_sbrr_dirReg, .Lfunc_end0-fft_rtc_fwd_len272_factors_16_17_wgs_119_tpt_17_halfLds_sp_ip_CI_unitstride_sbrr_dirReg
                                        ; -- End function
	.section	.AMDGPU.csdata,"",@progbits
; Kernel info:
; codeLenInByte = 8292
; NumSgprs: 23
; NumVgprs: 189
; ScratchSize: 0
; MemoryBound: 0
; FloatMode: 240
; IeeeMode: 1
; LDSByteSize: 0 bytes/workgroup (compile time only)
; SGPRBlocks: 2
; VGPRBlocks: 23
; NumSGPRsForWavesPerEU: 23
; NumVGPRsForWavesPerEU: 189
; Occupancy: 5
; WaveLimiterHint : 1
; COMPUTE_PGM_RSRC2:SCRATCH_EN: 0
; COMPUTE_PGM_RSRC2:USER_SGPR: 6
; COMPUTE_PGM_RSRC2:TRAP_HANDLER: 0
; COMPUTE_PGM_RSRC2:TGID_X_EN: 1
; COMPUTE_PGM_RSRC2:TGID_Y_EN: 0
; COMPUTE_PGM_RSRC2:TGID_Z_EN: 0
; COMPUTE_PGM_RSRC2:TIDIG_COMP_CNT: 0
	.text
	.p2alignl 6, 3214868480
	.fill 48, 4, 3214868480
	.type	__hip_cuid_613968899201afb8,@object ; @__hip_cuid_613968899201afb8
	.section	.bss,"aw",@nobits
	.globl	__hip_cuid_613968899201afb8
__hip_cuid_613968899201afb8:
	.byte	0                               ; 0x0
	.size	__hip_cuid_613968899201afb8, 1

	.ident	"AMD clang version 19.0.0git (https://github.com/RadeonOpenCompute/llvm-project roc-6.4.0 25133 c7fe45cf4b819c5991fe208aaa96edf142730f1d)"
	.section	".note.GNU-stack","",@progbits
	.addrsig
	.addrsig_sym __hip_cuid_613968899201afb8
	.amdgpu_metadata
---
amdhsa.kernels:
  - .args:
      - .actual_access:  read_only
        .address_space:  global
        .offset:         0
        .size:           8
        .value_kind:     global_buffer
      - .offset:         8
        .size:           8
        .value_kind:     by_value
      - .actual_access:  read_only
        .address_space:  global
        .offset:         16
        .size:           8
        .value_kind:     global_buffer
      - .actual_access:  read_only
        .address_space:  global
        .offset:         24
        .size:           8
        .value_kind:     global_buffer
      - .offset:         32
        .size:           8
        .value_kind:     by_value
      - .actual_access:  read_only
        .address_space:  global
        .offset:         40
        .size:           8
        .value_kind:     global_buffer
      - .actual_access:  read_only
        .address_space:  global
        .offset:         48
        .size:           8
        .value_kind:     global_buffer
      - .offset:         56
        .size:           4
        .value_kind:     by_value
      - .actual_access:  read_only
        .address_space:  global
        .offset:         64
        .size:           8
        .value_kind:     global_buffer
      - .actual_access:  read_only
        .address_space:  global
        .offset:         72
        .size:           8
        .value_kind:     global_buffer
      - .address_space:  global
        .offset:         80
        .size:           8
        .value_kind:     global_buffer
    .group_segment_fixed_size: 0
    .kernarg_segment_align: 8
    .kernarg_segment_size: 88
    .language:       OpenCL C
    .language_version:
      - 2
      - 0
    .max_flat_workgroup_size: 119
    .name:           fft_rtc_fwd_len272_factors_16_17_wgs_119_tpt_17_halfLds_sp_ip_CI_unitstride_sbrr_dirReg
    .private_segment_fixed_size: 0
    .sgpr_count:     23
    .sgpr_spill_count: 0
    .symbol:         fft_rtc_fwd_len272_factors_16_17_wgs_119_tpt_17_halfLds_sp_ip_CI_unitstride_sbrr_dirReg.kd
    .uniform_work_group_size: 1
    .uses_dynamic_stack: false
    .vgpr_count:     189
    .vgpr_spill_count: 0
    .wavefront_size: 32
    .workgroup_processor_mode: 1
amdhsa.target:   amdgcn-amd-amdhsa--gfx1030
amdhsa.version:
  - 1
  - 2
...

	.end_amdgpu_metadata
